;; amdgpu-corpus repo=ROCm/MIOpen kind=compiled arch=gfx1250 opt=O3
	.amdgcn_target "amdgcn-amd-amdhsa--gfx1250"
	.amdhsa_code_object_version 6
	.text
	.protected	gridwise_generic_reduce_1_prepare ; -- Begin function gridwise_generic_reduce_1_prepare
	.globl	gridwise_generic_reduce_1_prepare
	.p2align	8
	.type	gridwise_generic_reduce_1_prepare,@function
gridwise_generic_reduce_1_prepare:      ; @gridwise_generic_reduce_1_prepare
; %bb.0:
	s_mov_b32 s2, exec_lo
	v_cmpx_eq_u32_e32 0, v0
	s_cbranch_execz .LBB0_2
; %bb.1:
	s_clause 0x1
	s_load_b128 s[8:11], s[0:1], 0x8
	s_load_b128 s[4:7], s[0:1], 0x20
	s_get_pc_i64 s[12:13]
	s_add_nc_u64 s[12:13], s[12:13], __const.gridwise_generic_reduce_1_prepare.dstDesc@rel64+4
	s_load_b64 s[14:15], s[0:1], 0x38
	v_dual_mov_b32 v15, 0 :: v_dual_mov_b32 v1, 1
	s_wait_xcnt 0x0
	s_load_b128 s[0:3], s[12:13], 0x0
	s_wait_kmcnt 0x0
	s_add_co_i32 s16, s8, -1
	s_add_co_i32 s17, s9, -1
	v_mov_b64_e32 v[10:11], s[6:7]
	s_add_co_i32 s18, s10, -1
	v_mov_b64_e32 v[4:5], s[8:9]
	v_mov_b64_e32 v[8:9], s[4:5]
	s_mul_i32 s4, s4, s16
	s_mul_i32 s5, s5, s17
	;; [unrolled: 1-line block ×4, first 2 shown]
	v_mov_b64_e32 v[6:7], s[10:11]
	s_add_co_i32 s19, s11, -1
	s_mul_i32 s6, s6, s18
	s_add_co_i32 s4, s4, s5
	s_mul_i32 s13, s13, s12
	s_mul_i32 s7, s7, s19
	s_add_co_i32 s4, s4, s6
	v_dual_mov_b32 v14, s11 :: v_dual_mov_b32 v0, s13
	v_dual_mov_b32 v2, s13 :: v_dual_mov_b32 v3, s13
	s_mul_i32 s8, s12, s9
	s_add_co_i32 s4, s4, s7
	v_dual_mov_b32 v13, s12 :: v_dual_mov_b32 v12, s8
	s_clause 0x1
	global_store_b128 v15, v[4:7], s[14:15]
	global_store_b128 v15, v[8:11], s[14:15] offset:16
	s_add_co_i32 s4, s4, 1
	s_wait_xcnt 0x0
	v_mov_b64_e32 v[10:11], s[2:3]
	v_mov_b64_e32 v[8:9], s[0:1]
	global_store_b128 v15, v[0:3], s[14:15] offset:64
	s_wait_xcnt 0x0
	v_mov_b32_e32 v1, s4
	s_clause 0x4
	global_store_b128 v15, v[4:7], s[14:15] offset:32
	global_store_b96 v15, v[12:14], s[14:15] offset:48
	global_store_b8 v15, v15, s[14:15] offset:80
	global_store_b64 v15, v[0:1], s[14:15] offset:84
	global_store_b128 v15, v[8:11], s[14:15] offset:2048
.LBB0_2:
	s_endpgm
	.section	.rodata,"a",@progbits
	.p2align	6, 0x0
	.amdhsa_kernel gridwise_generic_reduce_1_prepare
		.amdhsa_group_segment_fixed_size 0
		.amdhsa_private_segment_fixed_size 0
		.amdhsa_kernarg_size 64
		.amdhsa_user_sgpr_count 2
		.amdhsa_user_sgpr_dispatch_ptr 0
		.amdhsa_user_sgpr_queue_ptr 0
		.amdhsa_user_sgpr_kernarg_segment_ptr 1
		.amdhsa_user_sgpr_dispatch_id 0
		.amdhsa_user_sgpr_kernarg_preload_length 0
		.amdhsa_user_sgpr_kernarg_preload_offset 0
		.amdhsa_user_sgpr_private_segment_size 0
		.amdhsa_wavefront_size32 1
		.amdhsa_uses_dynamic_stack 0
		.amdhsa_enable_private_segment 0
		.amdhsa_system_sgpr_workgroup_id_x 1
		.amdhsa_system_sgpr_workgroup_id_y 0
		.amdhsa_system_sgpr_workgroup_id_z 0
		.amdhsa_system_sgpr_workgroup_info 0
		.amdhsa_system_vgpr_workitem_id 0
		.amdhsa_next_free_vgpr 16
		.amdhsa_next_free_sgpr 20
		.amdhsa_named_barrier_count 0
		.amdhsa_reserve_vcc 0
		.amdhsa_float_round_mode_32 0
		.amdhsa_float_round_mode_16_64 0
		.amdhsa_float_denorm_mode_32 3
		.amdhsa_float_denorm_mode_16_64 3
		.amdhsa_fp16_overflow 0
		.amdhsa_memory_ordered 1
		.amdhsa_forward_progress 1
		.amdhsa_inst_pref_size 3
		.amdhsa_round_robin_scheduling 0
		.amdhsa_exception_fp_ieee_invalid_op 0
		.amdhsa_exception_fp_denorm_src 0
		.amdhsa_exception_fp_ieee_div_zero 0
		.amdhsa_exception_fp_ieee_overflow 0
		.amdhsa_exception_fp_ieee_underflow 0
		.amdhsa_exception_fp_ieee_inexact 0
		.amdhsa_exception_int_div_zero 0
	.end_amdhsa_kernel
	.text
.Lfunc_end0:
	.size	gridwise_generic_reduce_1_prepare, .Lfunc_end0-gridwise_generic_reduce_1_prepare
                                        ; -- End function
	.set gridwise_generic_reduce_1_prepare.num_vgpr, 16
	.set gridwise_generic_reduce_1_prepare.num_agpr, 0
	.set gridwise_generic_reduce_1_prepare.numbered_sgpr, 20
	.set gridwise_generic_reduce_1_prepare.num_named_barrier, 0
	.set gridwise_generic_reduce_1_prepare.private_seg_size, 0
	.set gridwise_generic_reduce_1_prepare.uses_vcc, 0
	.set gridwise_generic_reduce_1_prepare.uses_flat_scratch, 0
	.set gridwise_generic_reduce_1_prepare.has_dyn_sized_stack, 0
	.set gridwise_generic_reduce_1_prepare.has_recursion, 0
	.set gridwise_generic_reduce_1_prepare.has_indirect_call, 0
	.section	.AMDGPU.csdata,"",@progbits
; Kernel info:
; codeLenInByte = 320
; TotalNumSgprs: 20
; NumVgprs: 16
; ScratchSize: 0
; MemoryBound: 0
; FloatMode: 240
; IeeeMode: 1
; LDSByteSize: 0 bytes/workgroup (compile time only)
; SGPRBlocks: 0
; VGPRBlocks: 0
; NumSGPRsForWavesPerEU: 20
; NumVGPRsForWavesPerEU: 16
; NamedBarCnt: 0
; Occupancy: 16
; WaveLimiterHint : 1
; COMPUTE_PGM_RSRC2:SCRATCH_EN: 0
; COMPUTE_PGM_RSRC2:USER_SGPR: 2
; COMPUTE_PGM_RSRC2:TRAP_HANDLER: 0
; COMPUTE_PGM_RSRC2:TGID_X_EN: 1
; COMPUTE_PGM_RSRC2:TGID_Y_EN: 0
; COMPUTE_PGM_RSRC2:TGID_Z_EN: 0
; COMPUTE_PGM_RSRC2:TIDIG_COMP_CNT: 0
	.text
	.protected	gridwise_generic_reduce_1 ; -- Begin function gridwise_generic_reduce_1
	.globl	gridwise_generic_reduce_1
	.p2align	8
	.type	gridwise_generic_reduce_1,@function
gridwise_generic_reduce_1:              ; @gridwise_generic_reduce_1
; %bb.0:
	s_clause 0x1
	s_load_b32 s26, s[0:1], 0x4
	s_load_b64 s[20:21], s[0:1], 0x28
	s_bfe_u32 s2, ttmp6, 0x4000c
	s_and_b32 s3, ttmp6, 15
	s_add_co_i32 s2, s2, 1
	s_getreg_b32 s4, hwreg(HW_REG_IB_STS2, 6, 4)
	s_mul_i32 s2, ttmp9, s2
	s_mov_b32 s23, 0
	s_add_co_i32 s3, s3, s2
	s_cmp_eq_u32 s4, 0
	v_cmp_eq_u32_e32 vcc_lo, 0, v0
	s_cselect_b32 s27, ttmp9, s3
	s_wait_kmcnt 0x0
	s_abs_i32 s2, s26
	s_clause 0x1
	s_load_b32 s4, s[20:21], 0x48
	s_load_b32 s28, s[20:21], 0x800
	s_cvt_f32_u32 s3, s2
	s_sub_co_i32 s5, 0, s2
	s_delay_alu instid0(SALU_CYCLE_2) | instskip(SKIP_1) | instid1(TRANS32_DEP_1)
	v_rcp_iflag_f32_e32 v1, s3
	v_nop
	v_readfirstlane_b32 s3, v1
	s_mul_f32 s3, s3, 0x4f7ffffe
	s_wait_kmcnt 0x0
	s_add_co_i32 s4, s26, s4
	s_delay_alu instid0(SALU_CYCLE_1) | instskip(SKIP_1) | instid1(SALU_CYCLE_1)
	s_cvt_u32_f32 s3, s3
	s_add_co_i32 s4, s4, -1
	s_abs_i32 s6, s4
	s_delay_alu instid0(SALU_CYCLE_1) | instskip(SKIP_2) | instid1(SALU_CYCLE_1)
	s_mul_i32 s5, s5, s3
	s_ashr_i32 s4, s4, 31
	s_mul_hi_u32 s5, s3, s5
	s_add_co_i32 s22, s3, s5
	s_ashr_i32 s3, s26, 31
	s_mul_hi_u32 s5, s6, s22
	s_xor_b32 s4, s4, s3
	s_mul_i32 s7, s5, s2
	s_delay_alu instid0(SALU_CYCLE_1)
	s_sub_co_i32 s6, s6, s7
	s_add_co_i32 s7, s5, 1
	s_sub_co_i32 s8, s6, s2
	s_cmp_ge_u32 s6, s2
	s_cselect_b32 s5, s7, s5
	s_cselect_b32 s6, s8, s6
	s_add_co_i32 s7, s5, 1
	s_cmp_ge_u32 s6, s2
	s_cselect_b32 s5, s7, s5
	s_delay_alu instid0(SALU_CYCLE_1) | instskip(NEXT) | instid1(SALU_CYCLE_1)
	s_xor_b32 s5, s5, s4
	s_sub_co_i32 s4, s5, s4
	s_delay_alu instid0(SALU_CYCLE_1)
	s_cmp_lt_i32 s4, 1
	s_cbranch_scc1 .LBB1_22
; %bb.1:
	s_addk_co_i32 s4, 0x1ff
	s_ashr_i32 s13, s27, 31
	s_ashr_i32 s5, s4, 31
	s_clause 0x1
	s_load_b128 s[8:11], s[20:21], 0x24
	s_load_b64 s[24:25], s[20:21], 0x34
	s_lshr_b32 s5, s5, 23
	s_load_b32 s12, s[20:21], 0x4c
	s_add_co_i32 s5, s4, s5
	s_abs_i32 s4, s27
	s_ashr_i32 s6, s5, 31
	s_and_b32 s14, s5, 0xfffffe00
	s_lshr_b32 s6, s6, 24
	s_mov_b32 s5, s23
	s_or_b32 s15, s6, s14
	s_mul_u64 s[6:7], s[4:5], s[22:23]
	s_addk_co_i32 s15, 0xff
	s_mul_i32 s5, s7, s2
	s_ashr_i32 s22, s15, 8
	s_sub_co_i32 s4, s4, s5
	s_xor_b32 s3, s13, s3
	s_add_co_i32 s5, s7, 1
	s_sub_co_i32 s6, s4, s2
	s_cmp_ge_u32 s4, s2
	v_dual_lshlrev_b32 v1, 1, v0 :: v_dual_lshrrev_b32 v4, 8, v0
	s_cselect_b32 s5, s5, s7
	s_cselect_b32 s4, s6, s4
	s_add_co_i32 s6, s5, 1
	s_cmp_ge_u32 s4, s2
	v_and_b32_e32 v5, 0x1fe, v1
	s_cselect_b32 s2, s6, s5
	s_load_b32 s7, s[20:21], 0x58
	s_xor_b32 s2, s2, s3
	s_wait_kmcnt 0x0
	s_abs_i32 s46, s25
	s_sub_co_i32 s2, s2, s3
	s_abs_i32 s3, s11
	v_add_nc_u32_e32 v1, s2, v4
	s_cvt_f32_u32 s4, s3
	s_mul_i32 s2, s2, s26
	s_cvt_f32_u32 s13, s46
	s_sub_co_i32 s2, s27, s2
	v_mad_u32 v1, v1, s12, v5
	v_rcp_iflag_f32_e32 v2, s4
	s_sub_co_i32 s4, 0, s3
	s_ashr_i32 s5, s11, 31
	s_sub_co_i32 s16, 0, s46
	s_ashr_i32 s6, s24, 31
	s_ashr_i32 s47, s25, 31
	s_add_co_i32 s29, s22, -2
	v_lshlrev_b32_e32 v5, 2, v5
	s_delay_alu instid0(VALU_DEP_2)
	v_mad_u32 v1, s2, s14, v1
	v_readfirstlane_b32 s2, v2
	s_lshl_b32 s14, s7, 2
	s_add_co_i32 s7, s11, 1
	v_lshl_or_b32 v5, v4, 11, v5
	s_mul_f32 s2, s2, 0x4f7ffffe
	s_delay_alu instid0(SALU_CYCLE_3) | instskip(SKIP_1) | instid1(SALU_CYCLE_2)
	s_cvt_u32_f32 s2, s2
	v_sub_nc_u32_e32 v2, 0, v1
	s_mul_i32 s4, s4, s2
	s_delay_alu instid0(VALU_DEP_1) | instskip(SKIP_1) | instid1(SALU_CYCLE_1)
	v_max_i32_e32 v2, v1, v2
	s_mul_hi_u32 s4, s2, s4
	s_add_co_i32 s12, s2, s4
	s_abs_i32 s4, s24
	s_delay_alu instid0(VALU_DEP_1) | instskip(SKIP_2) | instid1(SALU_CYCLE_1)
	v_mul_hi_u32 v3, v2, s12
	s_cvt_f32_u32 s2, s4
	s_mul_hi_u32 s12, s12, 0x1ff
	s_mul_i32 s18, s12, s3
	s_delay_alu instid0(SALU_CYCLE_1) | instskip(NEXT) | instid1(VALU_DEP_1)
	v_rcp_iflag_f32_e32 v7, s2
	v_mul_lo_u32 v6, v3, s3
	s_delay_alu instid0(VALU_DEP_1) | instskip(SKIP_2) | instid1(TRANS32_DEP_2)
	v_dual_add_nc_u32 v8, 1, v3 :: v_dual_sub_nc_u32 v2, v2, v6
	v_rcp_iflag_f32_e32 v6, s13
	v_nop
	v_readfirstlane_b32 s13, v7
	s_delay_alu instid0(VALU_DEP_3) | instskip(SKIP_2) | instid1(TRANS32_DEP_1)
	v_subrev_nc_u32_e32 v7, s3, v2
	v_cmp_le_u32_e64 s2, s3, v2
	s_mul_f32 s13, s13, 0x4f7ffffe
	v_readfirstlane_b32 s15, v6
	v_dual_ashrrev_i32 v6, 31, v1 :: v_dual_cndmask_b32 v2, v2, v7, s2
	v_cndmask_b32_e64 v3, v3, v8, s2
	s_mul_f32 s15, s15, 0x4f7ffffe
	s_delay_alu instid0(VALU_DEP_2) | instskip(SKIP_4) | instid1(VALU_DEP_1)
	v_xor_b32_e32 v6, s5, v6
	s_cvt_u32_f32 s13, s13
	v_cmp_le_u32_e64 s2, s3, v2
	v_add_nc_u32_e32 v7, 1, v3
	s_cvt_u32_f32 s15, s15
	v_cndmask_b32_e64 v2, v3, v7, s2
	s_sub_co_i32 s2, 0, s4
	s_delay_alu instid0(SALU_CYCLE_1)
	s_mul_i32 s16, s16, s15
	s_mul_i32 s2, s2, s13
	s_mul_hi_u32 s16, s15, s16
	v_xor_b32_e32 v2, v2, v6
	s_mul_hi_u32 s2, s13, s2
	s_add_co_i32 s49, s15, s16
	s_add_co_i32 s48, s13, s2
	s_cmp_lt_u32 s7, 3
	v_sub_nc_u32_e32 v6, v2, v6
	s_cselect_b32 s30, s11, 0
	s_delay_alu instid0(SALU_CYCLE_1) | instskip(NEXT) | instid1(VALU_DEP_1)
	s_mul_i32 s2, s30, s11
	v_mul_lo_u32 v2, v6, s11
	s_sub_co_i32 s2, 1, s2
	s_delay_alu instid0(SALU_CYCLE_1) | instskip(SKIP_4) | instid1(SALU_CYCLE_1)
	s_abs_i32 s7, s2
	s_ashr_i32 s13, s2, 31
	s_mul_hi_u32 s15, s7, s48
	s_xor_b32 s13, s13, s6
	s_mul_i32 s16, s15, s4
	s_sub_co_i32 s7, s7, s16
	s_add_co_i32 s16, s15, 1
	s_delay_alu instid0(VALU_DEP_1) | instskip(SKIP_3) | instid1(VALU_DEP_1)
	v_sub_nc_u32_e32 v1, v1, v2
	s_sub_co_i32 s17, s7, s4
	s_cmp_ge_u32 s7, s4
	s_cselect_b32 s15, s16, s15
	v_sub_nc_u32_e32 v2, 0, v1
	s_cselect_b32 s7, s17, s7
	s_add_co_i32 s16, s15, 1
	s_cmp_ge_u32 s7, s4
	s_delay_alu instid0(VALU_DEP_1) | instskip(SKIP_1) | instid1(SALU_CYCLE_1)
	v_max_i32_e32 v2, v1, v2
	s_cselect_b32 s7, s16, s15
	s_xor_b32 s7, s7, s13
	s_delay_alu instid0(VALU_DEP_1) | instskip(SKIP_1) | instid1(SALU_CYCLE_1)
	v_mul_hi_u32 v3, v2, s48
	s_sub_co_i32 s31, s7, s13
	s_mul_i32 s7, s31, s24
	s_delay_alu instid0(SALU_CYCLE_1) | instskip(NEXT) | instid1(SALU_CYCLE_1)
	s_sub_co_i32 s7, s2, s7
	s_abs_i32 s2, s7
	s_ashr_i32 s13, s7, 31
	s_mul_hi_u32 s15, s2, s49
	s_xor_b32 s13, s13, s47
	s_delay_alu instid0(VALU_DEP_1) | instskip(SKIP_1) | instid1(SALU_CYCLE_1)
	v_mul_lo_u32 v7, v3, s4
	s_mul_i32 s16, s15, s46
	s_sub_co_i32 s2, s2, s16
	s_add_co_i32 s16, s15, 1
	s_sub_co_i32 s17, s2, s46
	s_cmp_ge_u32 s2, s46
	s_cselect_b32 s15, s16, s15
	s_cselect_b32 s2, s17, s2
	s_add_co_i32 s16, s15, 1
	s_delay_alu instid0(VALU_DEP_1)
	v_sub_nc_u32_e32 v2, v2, v7
	s_cmp_ge_u32 s2, s46
	v_add_nc_u32_e32 v7, 1, v3
	s_cselect_b32 s15, s16, s15
	s_sub_co_i32 s33, s8, s31
	v_subrev_nc_u32_e32 v8, s4, v2
	v_cmp_le_u32_e64 s2, s4, v2
	s_sub_co_i32 s44, 0x1ff, s18
	s_add_co_i32 s34, s31, s8
	s_sub_co_i32 s35, 0, s31
	s_add_co_i32 s45, s12, 1
	v_dual_cndmask_b32 v3, v3, v7, s2 :: v_dual_cndmask_b32 v2, v2, v8, s2
	v_ashrrev_i32_e32 v7, 31, v1
	s_sub_co_i32 s50, 0, s33
	s_load_b128 s[16:19], s[20:21], 0x10
	s_delay_alu instid0(VALU_DEP_2) | instskip(SKIP_1) | instid1(VALU_DEP_1)
	v_add_nc_u32_e32 v8, 1, v3
	v_cmp_le_u32_e64 s2, s4, v2
	v_dual_cndmask_b32 v2, v3, v8, s2 :: v_dual_bitop2_b32 v7, s6, v7 bitop3:0x14
	s_xor_b32 s2, s15, s13
	s_sub_co_i32 s15, s44, s3
	s_sub_co_i32 s36, s2, s13
	s_delay_alu instid0(VALU_DEP_1)
	v_xor_b32_e32 v2, v2, v7
	s_mul_i32 s2, s36, s25
	s_sub_co_i32 s37, s9, s36
	s_sub_co_i32 s40, s7, s2
	s_add_co_i32 s38, s36, s9
	v_sub_nc_u32_e32 v2, v2, v7
	s_sub_co_i32 s41, s10, s40
	s_sub_co_i32 s39, 0, s36
	;; [unrolled: 1-line block ×3, first 2 shown]
	s_add_co_i32 s42, s40, s10
	v_mul_lo_u32 v3, v2, s24
	s_sub_co_i32 s43, 0, s40
	s_sub_co_i32 s52, 0, s41
	s_cmp_ge_u32 s44, s3
	s_wait_kmcnt 0x0
	v_mul_lo_u32 v6, v6, s16
	s_cselect_b32 s2, s45, s12
	s_cselect_b32 s7, s15, s44
	s_add_co_i32 s15, s2, 1
	s_cmp_ge_u32 s7, s3
	s_load_b64 s[12:13], s[0:1], 0x10
	s_wait_xcnt 0x0
	s_cselect_b32 s0, s15, s2
	v_sub_nc_u32_e32 v7, v1, v3
	s_xor_b32 s0, s0, s5
	v_lshlrev_b32_e32 v1, 2, v0
	s_sub_co_i32 s45, s0, s5
	v_mad_u32 v6, v2, s17, v6
	v_sub_nc_u32_e32 v3, 0, v7
	s_mul_i32 s1, s45, s11
	v_cmp_gt_u32_e64 s0, 0x80, v0
	s_sub_co_i32 s7, 0x1ff, s1
	v_cmp_gt_u32_e64 s1, 64, v0
	v_max_i32_e32 v8, v7, v3
	s_abs_i32 s3, s7
	s_ashr_i32 s11, s7, 31
	s_mul_hi_u32 s5, s3, s48
	s_xor_b32 s11, s11, s6
	v_mul_hi_u32 v9, v8, s49
	s_mul_i32 s48, s5, s4
	v_mov_b32_e32 v3, 0
	s_sub_co_i32 s6, s3, s48
	s_add_co_i32 s48, s5, 1
	s_sub_co_i32 s53, s6, s4
	s_cmp_ge_u32 s6, s4
	v_cmp_gt_u32_e64 s2, 32, v0
	s_cselect_b32 s5, s48, s5
	s_cselect_b32 s6, s53, s6
	s_add_co_i32 s48, s5, 1
	v_mul_lo_u32 v10, v9, s46
	s_cmp_ge_u32 s6, s4
	v_cmp_gt_u32_e64 s3, 16, v0
	s_cselect_b32 s6, s48, s5
	v_cmp_gt_u32_e64 s4, 8, v0
	s_xor_b32 s48, s6, s11
	v_cmp_gt_u32_e64 s5, 4, v0
	s_sub_co_i32 s11, s48, s11
	v_cmp_gt_u32_e64 s6, 2, v0
	s_mul_i32 s24, s11, s24
	s_mov_b32 s44, 2
	v_sub_nc_u32_e32 v8, v8, v10
	s_sub_co_i32 s48, s7, s24
	v_add_nc_u32_e32 v10, 1, v9
	s_abs_i32 s24, s48
	s_ashr_i32 s53, s48, 31
	v_cmp_le_u32_e64 s7, s46, v8
	s_mul_hi_u32 s49, s24, s49
	s_xor_b32 s53, s53, s47
	s_mul_i32 s54, s49, s46
	s_mov_b32 s15, 0x20000
	v_cndmask_b32_e64 v9, v9, v10, s7
	v_subrev_nc_u32_e32 v11, s46, v8
	v_ashrrev_i32_e32 v10, 31, v7
	s_delay_alu instid0(VALU_DEP_2) | instskip(NEXT) | instid1(VALU_DEP_2)
	v_dual_cndmask_b32 v8, v8, v11, s7 :: v_dual_add_nc_u32 v11, 1, v9
	v_xor_b32_e32 v10, s47, v10
	s_delay_alu instid0(VALU_DEP_2) | instskip(NEXT) | instid1(VALU_DEP_1)
	v_cmp_le_u32_e64 s7, s46, v8
	v_cndmask_b32_e64 v8, v9, v11, s7
	s_sub_co_i32 s7, s24, s54
	s_add_co_i32 s24, s49, 1
	s_sub_co_i32 s47, s7, s46
	s_cmp_ge_u32 s7, s46
	v_xor_b32_e32 v8, v8, v10
	s_cselect_b32 s24, s24, s49
	s_cselect_b32 s7, s47, s7
	s_add_co_i32 s47, s24, 1
	s_cmp_ge_u32 s7, s46
	v_sub_nc_u32_e32 v12, v8, v10
	s_cselect_b32 s7, s47, s24
	s_sub_co_i32 s24, s8, s11
	s_xor_b32 s7, s7, s53
	s_add_co_i32 s46, s11, s8
	v_mul_lo_u32 v4, v12, s25
	v_mad_u32 v6, v12, s18, v6
	s_sub_co_i32 s47, s7, s53
	s_sub_co_i32 s7, 0, s24
	s_mul_i32 s8, s47, s25
	s_sub_co_i32 s25, s9, s47
	s_sub_co_i32 s48, s48, s8
	;; [unrolled: 1-line block ×4, first 2 shown]
	v_mov_b32_e32 v8, s50
	s_sub_co_i32 s53, 0, s49
	v_dual_sub_nc_u32 v13, v7, v4 :: v_dual_mov_b32 v7, s51
	v_dual_mov_b32 v9, s53 :: v_dual_mov_b32 v10, s8
	v_dual_mov_b32 v11, s7 :: v_dual_mov_b32 v4, 0
	s_delay_alu instid0(VALU_DEP_3)
	v_mad_u32 v18, v13, s19, v6
	v_mov_b32_e32 v6, s52
	s_add_co_i32 s9, s47, s9
	s_add_co_i32 s10, s48, s10
	s_sub_co_i32 s50, 0, s48
	s_sub_co_i32 s51, 0, s47
	;; [unrolled: 1-line block ×3, first 2 shown]
	s_branch .LBB1_3
.LBB1_2:                                ;   in Loop: Header=BB1_3 Depth=1
	s_or_b32 exec_lo, exec_lo, s7
	v_dual_add_nc_u32 v13, v15, v13 :: v_dual_add_nc_u32 v12, v17, v12
	v_add_nc_u32_e32 v2, v16, v2
	s_wait_dscnt 0x0
	s_barrier_signal -1
	s_delay_alu instid0(VALU_DEP_2)
	v_cmp_le_i32_e64 s7, s49, v13
	v_cmp_gt_i32_e64 s8, s50, v13
	s_barrier_wait -1
	ds_load_b32 v20, v3
	v_cndmask_b32_e64 v18, 0, 1, s7
	s_add_co_i32 s23, s23, 2
	s_add_co_i32 s44, s44, -2
	s_cmp_ge_i32 s23, s22
	s_delay_alu instid0(VALU_DEP_1) | instskip(NEXT) | instid1(VALU_DEP_1)
	v_cndmask_b32_e64 v17, v18, -1, s8
	v_dual_cndmask_b32 v15, s48, v9, s7 :: v_dual_add_nc_u32 v18, v17, v12
	s_delay_alu instid0(VALU_DEP_1) | instskip(NEXT) | instid1(VALU_DEP_2)
	v_cndmask_b32_e64 v15, v15, s10, s8
	v_cmp_le_i32_e64 s7, s25, v18
	v_cmp_gt_i32_e64 s8, s51, v18
	s_delay_alu instid0(VALU_DEP_3) | instskip(SKIP_1) | instid1(VALU_DEP_4)
	v_mad_u32 v14, v15, s19, v14
	v_add_nc_u32_e32 v13, v15, v13
	v_cndmask_b32_e64 v18, 0, 1, s7
	v_cndmask_b32_e64 v19, s47, v10, s7
	s_delay_alu instid0(VALU_DEP_2) | instskip(NEXT) | instid1(VALU_DEP_2)
	v_cndmask_b32_e64 v18, v18, -1, s8
	v_cndmask_b32_e64 v16, v19, s9, s8
	s_delay_alu instid0(VALU_DEP_1) | instskip(NEXT) | instid1(VALU_DEP_1)
	v_dual_add_nc_u32 v19, v18, v2 :: v_dual_add_nc_u32 v16, v16, v17
	v_cmp_le_i32_e64 s7, s24, v19
	v_cmp_gt_i32_e64 s8, s52, v19
	s_delay_alu instid0(VALU_DEP_3) | instskip(SKIP_1) | instid1(VALU_DEP_4)
	v_mad_u32 v14, v16, s18, v14
	v_add_nc_u32_e32 v12, v16, v12
	v_cndmask_b32_e64 v19, 0, 1, s7
	v_cndmask_b32_e64 v17, s11, v11, s7
	s_delay_alu instid0(VALU_DEP_2) | instskip(NEXT) | instid1(VALU_DEP_2)
	v_cndmask_b32_e64 v19, v19, -1, s8
	v_cndmask_b32_e64 v17, v17, s46, s8
	s_delay_alu instid0(VALU_DEP_1) | instskip(NEXT) | instid1(VALU_DEP_1)
	v_dual_add_nc_u32 v19, s45, v19 :: v_dual_add_nc_u32 v17, v17, v18
	v_mad_u32 v14, v19, s16, v14
	s_wait_dscnt 0x0
	s_delay_alu instid0(VALU_DEP_2) | instskip(NEXT) | instid1(VALU_DEP_1)
	v_dual_add_f32 v19, v4, v20 :: v_dual_add_nc_u32 v2, v17, v2
	v_cndmask_b32_e32 v4, v4, v19, vcc_lo
	s_delay_alu instid0(VALU_DEP_3)
	v_mad_u32 v18, v17, s17, v14
	s_cbranch_scc1 .LBB1_23
.LBB1_3:                                ; =>This Loop Header: Depth=1
                                        ;     Child Loop BB1_5 Depth 2
	v_cmp_le_i32_e64 s7, s41, v13
	s_delay_alu instid0(VALU_DEP_1) | instskip(SKIP_2) | instid1(VALU_DEP_1)
	v_cndmask_b32_e64 v14, s40, v6, s7
	v_cndmask_b32_e64 v16, 0, 1, s7
	v_cmp_gt_i32_e64 s7, s43, v13
	v_cndmask_b32_e64 v15, v14, s42, s7
	s_delay_alu instid0(VALU_DEP_3) | instskip(NEXT) | instid1(VALU_DEP_2)
	v_cndmask_b32_e64 v14, v16, -1, s7
	v_mad_u32 v21, v15, s19, v18
	s_delay_alu instid0(VALU_DEP_2) | instskip(NEXT) | instid1(VALU_DEP_1)
	v_dual_add_nc_u32 v16, v14, v12 :: v_dual_lshlrev_b32 v18, 2, v18
	v_cmp_le_i32_e64 s7, s37, v16
	s_delay_alu instid0(VALU_DEP_1) | instskip(SKIP_2) | instid1(VALU_DEP_1)
	v_cndmask_b32_e64 v17, s36, v7, s7
	v_cndmask_b32_e64 v19, 0, 1, s7
	v_cmp_gt_i32_e64 s7, s39, v16
	v_cndmask_b32_e64 v19, v19, -1, s7
	s_delay_alu instid0(VALU_DEP_4) | instskip(NEXT) | instid1(VALU_DEP_2)
	v_cndmask_b32_e64 v16, v17, s38, s7
	v_add_nc_u32_e32 v20, v19, v2
	s_delay_alu instid0(VALU_DEP_2) | instskip(NEXT) | instid1(VALU_DEP_2)
	v_add_nc_u32_e32 v17, v16, v14
	v_cmp_le_i32_e64 s7, s33, v20
	s_delay_alu instid0(VALU_DEP_1)
	v_cndmask_b32_e64 v14, s31, v8, s7
	v_cmp_gt_i32_e64 s8, s35, v20
	v_cndmask_b32_e64 v16, 0, 1, s7
	s_sub_co_i32 s7, s22, s23
	s_cmp_ge_i32 s23, s29
	v_cndmask_b32_e64 v14, v14, s34, s8
	s_delay_alu instid0(VALU_DEP_2) | instskip(SKIP_1) | instid1(SALU_CYCLE_1)
	v_cndmask_b32_e64 v16, v16, -1, s8
	s_cselect_b32 s7, s7, 2
	s_cmp_eq_u32 s7, 0
	s_delay_alu instid0(VALU_DEP_1) | instskip(SKIP_1) | instid1(VALU_DEP_1)
	v_add_nc_u32_e32 v16, s30, v16
	v_mad_u32 v20, v17, s18, v21
	v_mad_u32 v20, v16, s16, v20
	v_add_nc_u32_e32 v16, v14, v19
	s_delay_alu instid0(VALU_DEP_1) | instskip(NEXT) | instid1(VALU_DEP_1)
	v_mad_u32 v14, v16, s17, v20
	v_lshlrev_b32_e32 v19, 2, v14
	s_wait_kmcnt 0x0
	s_clause 0x1
	buffer_load_b32 v20, v18, s[12:15], null offen
	buffer_load_b32 v21, v19, s[12:15], null offen
	s_wait_xcnt 0x1
	v_mov_b32_e32 v18, 0
	s_wait_loadcnt 0x0
	ds_store_b64 v5, v[20:21]
	s_wait_dscnt 0x0
	s_barrier_signal -1
	s_barrier_wait -1
	s_barrier_signal -1
	s_barrier_wait -1
	;; [unrolled: 2-line block ×3, first 2 shown]
	s_cbranch_scc1 .LBB1_6
; %bb.4:                                ;   in Loop: Header=BB1_3 Depth=1
	v_dual_mov_b32 v18, 0 :: v_dual_mov_b32 v19, v1
	s_min_i32 s7, s23, s29
	s_delay_alu instid0(SALU_CYCLE_1)
	s_add_co_i32 s7, s7, s44
.LBB1_5:                                ;   Parent Loop BB1_3 Depth=1
                                        ; =>  This Inner Loop Header: Depth=2
	ds_load_b32 v20, v19
	v_add_nc_u32_e32 v19, 0x400, v19
	s_add_co_i32 s7, s7, -1
	s_delay_alu instid0(SALU_CYCLE_1)
	s_cmp_eq_u32 s7, 0
	s_wait_dscnt 0x0
	v_add_f32_e32 v18, v18, v20
	s_cbranch_scc0 .LBB1_5
.LBB1_6:                                ;   in Loop: Header=BB1_3 Depth=1
	ds_store_b32 v1, v18
	s_wait_dscnt 0x0
	s_barrier_signal -1
	s_barrier_wait -1
	s_and_saveexec_b32 s7, s0
	s_cbranch_execz .LBB1_8
; %bb.7:                                ;   in Loop: Header=BB1_3 Depth=1
	ds_load_2addr_stride64_b32 v[18:19], v1 offset1:2
	s_wait_dscnt 0x0
	v_add_f32_e32 v18, v18, v19
	ds_store_b32 v1, v18
.LBB1_8:                                ;   in Loop: Header=BB1_3 Depth=1
	s_or_b32 exec_lo, exec_lo, s7
	s_wait_dscnt 0x0
	s_barrier_signal -1
	s_barrier_wait -1
	s_and_saveexec_b32 s7, s1
	s_cbranch_execz .LBB1_10
; %bb.9:                                ;   in Loop: Header=BB1_3 Depth=1
	ds_load_2addr_stride64_b32 v[18:19], v1 offset1:1
	s_wait_dscnt 0x0
	v_add_f32_e32 v18, v18, v19
	ds_store_b32 v1, v18
.LBB1_10:                               ;   in Loop: Header=BB1_3 Depth=1
	s_or_b32 exec_lo, exec_lo, s7
	s_wait_dscnt 0x0
	s_barrier_signal -1
	s_barrier_wait -1
	s_and_saveexec_b32 s7, s2
	s_cbranch_execz .LBB1_12
; %bb.11:                               ;   in Loop: Header=BB1_3 Depth=1
	ds_load_2addr_b32 v[18:19], v1 offset1:32
	s_wait_dscnt 0x0
	v_add_f32_e32 v18, v18, v19
	ds_store_b32 v1, v18
.LBB1_12:                               ;   in Loop: Header=BB1_3 Depth=1
	s_or_b32 exec_lo, exec_lo, s7
	s_wait_dscnt 0x0
	s_barrier_signal -1
	s_barrier_wait -1
	s_and_saveexec_b32 s7, s3
	s_cbranch_execz .LBB1_14
; %bb.13:                               ;   in Loop: Header=BB1_3 Depth=1
	ds_load_2addr_b32 v[18:19], v1 offset1:16
	s_wait_dscnt 0x0
	v_add_f32_e32 v18, v18, v19
	ds_store_b32 v1, v18
.LBB1_14:                               ;   in Loop: Header=BB1_3 Depth=1
	;; [unrolled: 12-line block ×5, first 2 shown]
	s_or_b32 exec_lo, exec_lo, s7
	s_wait_dscnt 0x0
	s_barrier_signal -1
	s_barrier_wait -1
	s_and_saveexec_b32 s7, vcc_lo
	s_cbranch_execz .LBB1_2
; %bb.21:                               ;   in Loop: Header=BB1_3 Depth=1
	ds_load_b32 v18, v1
	ds_load_b32 v19, v3 offset:4
	s_wait_dscnt 0x0
	v_add_f32_e32 v18, v18, v19
	ds_store_b32 v1, v18
	s_branch .LBB1_2
.LBB1_22:
	v_mov_b32_e32 v4, 0
.LBB1_23:
	s_mov_b32 s0, exec_lo
	v_cmpx_eq_u32_e32 0, v0
	s_cbranch_execz .LBB1_25
; %bb.24:
	s_lshl_b32 s0, s27, 2
	s_mul_i32 s26, s26, s28
	v_mov_b32_e32 v0, s0
	s_add_nc_u64 s[0:1], s[20:21], 0x1000
	s_lshl_b32 s2, s26, 2
	s_mov_b32 s3, 0x20000
	buffer_store_b32 v4, v0, s[0:3], null offen
.LBB1_25:
	s_endpgm
	.section	.rodata,"a",@progbits
	.p2align	6, 0x0
	.amdhsa_kernel gridwise_generic_reduce_1
		.amdhsa_group_segment_fixed_size 2048
		.amdhsa_private_segment_fixed_size 0
		.amdhsa_kernarg_size 64
		.amdhsa_user_sgpr_count 2
		.amdhsa_user_sgpr_dispatch_ptr 0
		.amdhsa_user_sgpr_queue_ptr 0
		.amdhsa_user_sgpr_kernarg_segment_ptr 1
		.amdhsa_user_sgpr_dispatch_id 0
		.amdhsa_user_sgpr_kernarg_preload_length 0
		.amdhsa_user_sgpr_kernarg_preload_offset 0
		.amdhsa_user_sgpr_private_segment_size 0
		.amdhsa_wavefront_size32 1
		.amdhsa_uses_dynamic_stack 0
		.amdhsa_enable_private_segment 0
		.amdhsa_system_sgpr_workgroup_id_x 1
		.amdhsa_system_sgpr_workgroup_id_y 0
		.amdhsa_system_sgpr_workgroup_id_z 0
		.amdhsa_system_sgpr_workgroup_info 0
		.amdhsa_system_vgpr_workitem_id 0
		.amdhsa_next_free_vgpr 22
		.amdhsa_next_free_sgpr 55
		.amdhsa_named_barrier_count 0
		.amdhsa_reserve_vcc 1
		.amdhsa_float_round_mode_32 0
		.amdhsa_float_round_mode_16_64 0
		.amdhsa_float_denorm_mode_32 3
		.amdhsa_float_denorm_mode_16_64 3
		.amdhsa_fp16_overflow 0
		.amdhsa_memory_ordered 1
		.amdhsa_forward_progress 1
		.amdhsa_inst_pref_size 23
		.amdhsa_round_robin_scheduling 0
		.amdhsa_exception_fp_ieee_invalid_op 0
		.amdhsa_exception_fp_denorm_src 0
		.amdhsa_exception_fp_ieee_div_zero 0
		.amdhsa_exception_fp_ieee_overflow 0
		.amdhsa_exception_fp_ieee_underflow 0
		.amdhsa_exception_fp_ieee_inexact 0
		.amdhsa_exception_int_div_zero 0
	.end_amdhsa_kernel
	.text
.Lfunc_end1:
	.size	gridwise_generic_reduce_1, .Lfunc_end1-gridwise_generic_reduce_1
                                        ; -- End function
	.set gridwise_generic_reduce_1.num_vgpr, 22
	.set gridwise_generic_reduce_1.num_agpr, 0
	.set gridwise_generic_reduce_1.numbered_sgpr, 55
	.set gridwise_generic_reduce_1.num_named_barrier, 0
	.set gridwise_generic_reduce_1.private_seg_size, 0
	.set gridwise_generic_reduce_1.uses_vcc, 1
	.set gridwise_generic_reduce_1.uses_flat_scratch, 0
	.set gridwise_generic_reduce_1.has_dyn_sized_stack, 0
	.set gridwise_generic_reduce_1.has_recursion, 0
	.set gridwise_generic_reduce_1.has_indirect_call, 0
	.section	.AMDGPU.csdata,"",@progbits
; Kernel info:
; codeLenInByte = 2876
; TotalNumSgprs: 57
; NumVgprs: 22
; ScratchSize: 0
; MemoryBound: 0
; FloatMode: 240
; IeeeMode: 1
; LDSByteSize: 2048 bytes/workgroup (compile time only)
; SGPRBlocks: 0
; VGPRBlocks: 1
; NumSGPRsForWavesPerEU: 57
; NumVGPRsForWavesPerEU: 22
; NamedBarCnt: 0
; Occupancy: 16
; WaveLimiterHint : 1
; COMPUTE_PGM_RSRC2:SCRATCH_EN: 0
; COMPUTE_PGM_RSRC2:USER_SGPR: 2
; COMPUTE_PGM_RSRC2:TRAP_HANDLER: 0
; COMPUTE_PGM_RSRC2:TGID_X_EN: 1
; COMPUTE_PGM_RSRC2:TGID_Y_EN: 0
; COMPUTE_PGM_RSRC2:TGID_Z_EN: 0
; COMPUTE_PGM_RSRC2:TIDIG_COMP_CNT: 0
	.text
	.p2alignl 7, 3214868480
	.fill 96, 4, 3214868480
	.section	.AMDGPU.gpr_maximums,"",@progbits
	.set amdgpu.max_num_vgpr, 0
	.set amdgpu.max_num_agpr, 0
	.set amdgpu.max_num_sgpr, 0
	.text
	.type	__const.gridwise_generic_reduce_1_prepare.dstDesc,@object ; @__const.gridwise_generic_reduce_1_prepare.dstDesc
	.section	.rodata.cst16,"aM",@progbits,16
	.p2align	2, 0x0
__const.gridwise_generic_reduce_1_prepare.dstDesc:
	.long	1                               ; 0x1
	.long	1                               ; 0x1
	.long	1                               ; 0x1
	.long	1                               ; 0x1
	.size	__const.gridwise_generic_reduce_1_prepare.dstDesc, 16

	.type	__hip_cuid_2af650ac2631ba62,@object ; @__hip_cuid_2af650ac2631ba62
	.section	.bss,"aw",@nobits
	.globl	__hip_cuid_2af650ac2631ba62
__hip_cuid_2af650ac2631ba62:
	.byte	0                               ; 0x0
	.size	__hip_cuid_2af650ac2631ba62, 1

	.ident	"AMD clang version 22.0.0git (https://github.com/RadeonOpenCompute/llvm-project roc-7.2.4 26084 f58b06dce1f9c15707c5f808fd002e18c2accf7e)"
	.section	".note.GNU-stack","",@progbits
	.addrsig
	.addrsig_sym __hip_cuid_2af650ac2631ba62
	.amdgpu_metadata
---
amdhsa.kernels:
  - .args:
      - .offset:         0
        .size:           4
        .value_kind:     by_value
      - .offset:         4
        .size:           4
        .value_kind:     by_value
      - .offset:         8
        .size:           4
        .value_kind:     by_value
      - .offset:         12
        .size:           4
        .value_kind:     by_value
      - .offset:         16
        .size:           4
        .value_kind:     by_value
      - .offset:         20
        .size:           4
        .value_kind:     by_value
      - .offset:         24
        .size:           4
        .value_kind:     by_value
      - .offset:         28
        .size:           4
        .value_kind:     by_value
      - .offset:         32
        .size:           4
        .value_kind:     by_value
      - .offset:         36
        .size:           4
        .value_kind:     by_value
      - .offset:         40
        .size:           4
        .value_kind:     by_value
      - .offset:         44
        .size:           4
        .value_kind:     by_value
      - .offset:         48
        .size:           4
        .value_kind:     by_value
      - .offset:         52
        .size:           4
        .value_kind:     by_value
      - .actual_access:  write_only
        .address_space:  global
        .offset:         56
        .size:           8
        .value_kind:     global_buffer
    .group_segment_fixed_size: 0
    .kernarg_segment_align: 8
    .kernarg_segment_size: 64
    .language:       OpenCL C
    .language_version:
      - 2
      - 0
    .max_flat_workgroup_size: 1024
    .name:           gridwise_generic_reduce_1_prepare
    .private_segment_fixed_size: 0
    .sgpr_count:     20
    .sgpr_spill_count: 0
    .symbol:         gridwise_generic_reduce_1_prepare.kd
    .uniform_work_group_size: 1
    .uses_dynamic_stack: false
    .vgpr_count:     16
    .vgpr_spill_count: 0
    .wavefront_size: 32
  - .args:
      - .offset:         0
        .size:           4
        .value_kind:     by_value
      - .offset:         4
        .size:           4
        .value_kind:     by_value
      - .offset:         8
        .size:           4
        .value_kind:     by_value
      - .address_space:  global
        .offset:         16
        .size:           8
        .value_kind:     global_buffer
      - .offset:         24
        .size:           4
        .value_kind:     by_value
      - .actual_access:  read_only
        .address_space:  global
        .offset:         32
        .size:           8
        .value_kind:     global_buffer
      - .address_space:  constant
        .offset:         40
        .size:           8
        .value_kind:     global_buffer
      - .offset:         48
        .size:           8
        .value_kind:     by_value
      - .actual_access:  read_only
        .address_space:  global
        .offset:         56
        .size:           8
        .value_kind:     global_buffer
    .group_segment_fixed_size: 2048
    .kernarg_segment_align: 8
    .kernarg_segment_size: 64
    .language:       OpenCL C
    .language_version:
      - 2
      - 0
    .max_flat_workgroup_size: 1024
    .name:           gridwise_generic_reduce_1
    .private_segment_fixed_size: 0
    .sgpr_count:     57
    .sgpr_spill_count: 0
    .symbol:         gridwise_generic_reduce_1.kd
    .uniform_work_group_size: 1
    .uses_dynamic_stack: false
    .vgpr_count:     22
    .vgpr_spill_count: 0
    .wavefront_size: 32
amdhsa.target:   amdgcn-amd-amdhsa--gfx1250
amdhsa.version:
  - 1
  - 2
...

	.end_amdgpu_metadata
